;; amdgpu-corpus repo=ROCm/rocFFT kind=compiled arch=gfx1030 opt=O3
	.text
	.amdgcn_target "amdgcn-amd-amdhsa--gfx1030"
	.amdhsa_code_object_version 6
	.protected	fft_rtc_back_len1274_factors_2_13_7_7_wgs_182_tpt_182_halfLds_half_ip_CI_unitstride_sbrr_dirReg ; -- Begin function fft_rtc_back_len1274_factors_2_13_7_7_wgs_182_tpt_182_halfLds_half_ip_CI_unitstride_sbrr_dirReg
	.globl	fft_rtc_back_len1274_factors_2_13_7_7_wgs_182_tpt_182_halfLds_half_ip_CI_unitstride_sbrr_dirReg
	.p2align	8
	.type	fft_rtc_back_len1274_factors_2_13_7_7_wgs_182_tpt_182_halfLds_half_ip_CI_unitstride_sbrr_dirReg,@function
fft_rtc_back_len1274_factors_2_13_7_7_wgs_182_tpt_182_halfLds_half_ip_CI_unitstride_sbrr_dirReg: ; @fft_rtc_back_len1274_factors_2_13_7_7_wgs_182_tpt_182_halfLds_half_ip_CI_unitstride_sbrr_dirReg
; %bb.0:
	s_clause 0x2
	s_load_dwordx4 s[8:11], s[4:5], 0x0
	s_load_dwordx2 s[2:3], s[4:5], 0x50
	s_load_dwordx2 s[12:13], s[4:5], 0x18
	v_mul_u32_u24_e32 v1, 0x169, v0
	v_mov_b32_e32 v3, 0
	v_add_nc_u32_sdwa v5, s6, v1 dst_sel:DWORD dst_unused:UNUSED_PAD src0_sel:DWORD src1_sel:WORD_1
	v_mov_b32_e32 v1, 0
	v_mov_b32_e32 v6, v3
	v_mov_b32_e32 v2, 0
	s_waitcnt lgkmcnt(0)
	v_cmp_lt_u64_e64 s0, s[10:11], 2
	s_and_b32 vcc_lo, exec_lo, s0
	s_cbranch_vccnz .LBB0_8
; %bb.1:
	s_load_dwordx2 s[0:1], s[4:5], 0x10
	v_mov_b32_e32 v1, 0
	s_add_u32 s6, s12, 8
	v_mov_b32_e32 v2, 0
	s_addc_u32 s7, s13, 0
	s_mov_b64 s[16:17], 1
	s_waitcnt lgkmcnt(0)
	s_add_u32 s14, s0, 8
	s_addc_u32 s15, s1, 0
.LBB0_2:                                ; =>This Inner Loop Header: Depth=1
	s_load_dwordx2 s[18:19], s[14:15], 0x0
                                        ; implicit-def: $vgpr7_vgpr8
	s_mov_b32 s0, exec_lo
	s_waitcnt lgkmcnt(0)
	v_or_b32_e32 v4, s19, v6
	v_cmpx_ne_u64_e32 0, v[3:4]
	s_xor_b32 s1, exec_lo, s0
	s_cbranch_execz .LBB0_4
; %bb.3:                                ;   in Loop: Header=BB0_2 Depth=1
	v_cvt_f32_u32_e32 v4, s18
	v_cvt_f32_u32_e32 v7, s19
	s_sub_u32 s0, 0, s18
	s_subb_u32 s20, 0, s19
	v_fmac_f32_e32 v4, 0x4f800000, v7
	v_rcp_f32_e32 v4, v4
	v_mul_f32_e32 v4, 0x5f7ffffc, v4
	v_mul_f32_e32 v7, 0x2f800000, v4
	v_trunc_f32_e32 v7, v7
	v_fmac_f32_e32 v4, 0xcf800000, v7
	v_cvt_u32_f32_e32 v7, v7
	v_cvt_u32_f32_e32 v4, v4
	v_mul_lo_u32 v8, s0, v7
	v_mul_hi_u32 v9, s0, v4
	v_mul_lo_u32 v10, s20, v4
	v_add_nc_u32_e32 v8, v9, v8
	v_mul_lo_u32 v9, s0, v4
	v_add_nc_u32_e32 v8, v8, v10
	v_mul_hi_u32 v10, v4, v9
	v_mul_lo_u32 v11, v4, v8
	v_mul_hi_u32 v12, v4, v8
	v_mul_hi_u32 v13, v7, v9
	v_mul_lo_u32 v9, v7, v9
	v_mul_hi_u32 v14, v7, v8
	v_mul_lo_u32 v8, v7, v8
	v_add_co_u32 v10, vcc_lo, v10, v11
	v_add_co_ci_u32_e32 v11, vcc_lo, 0, v12, vcc_lo
	v_add_co_u32 v9, vcc_lo, v10, v9
	v_add_co_ci_u32_e32 v9, vcc_lo, v11, v13, vcc_lo
	v_add_co_ci_u32_e32 v10, vcc_lo, 0, v14, vcc_lo
	v_add_co_u32 v8, vcc_lo, v9, v8
	v_add_co_ci_u32_e32 v9, vcc_lo, 0, v10, vcc_lo
	v_add_co_u32 v4, vcc_lo, v4, v8
	v_add_co_ci_u32_e32 v7, vcc_lo, v7, v9, vcc_lo
	v_mul_hi_u32 v8, s0, v4
	v_mul_lo_u32 v10, s20, v4
	v_mul_lo_u32 v9, s0, v7
	v_add_nc_u32_e32 v8, v8, v9
	v_mul_lo_u32 v9, s0, v4
	v_add_nc_u32_e32 v8, v8, v10
	v_mul_hi_u32 v10, v4, v9
	v_mul_lo_u32 v11, v4, v8
	v_mul_hi_u32 v12, v4, v8
	v_mul_hi_u32 v13, v7, v9
	v_mul_lo_u32 v9, v7, v9
	v_mul_hi_u32 v14, v7, v8
	v_mul_lo_u32 v8, v7, v8
	v_add_co_u32 v10, vcc_lo, v10, v11
	v_add_co_ci_u32_e32 v11, vcc_lo, 0, v12, vcc_lo
	v_add_co_u32 v9, vcc_lo, v10, v9
	v_add_co_ci_u32_e32 v9, vcc_lo, v11, v13, vcc_lo
	v_add_co_ci_u32_e32 v10, vcc_lo, 0, v14, vcc_lo
	v_add_co_u32 v8, vcc_lo, v9, v8
	v_add_co_ci_u32_e32 v9, vcc_lo, 0, v10, vcc_lo
	v_add_co_u32 v4, vcc_lo, v4, v8
	v_add_co_ci_u32_e32 v11, vcc_lo, v7, v9, vcc_lo
	v_mul_hi_u32 v13, v5, v4
	v_mad_u64_u32 v[9:10], null, v6, v4, 0
	v_mad_u64_u32 v[7:8], null, v5, v11, 0
	;; [unrolled: 1-line block ×3, first 2 shown]
	v_add_co_u32 v4, vcc_lo, v13, v7
	v_add_co_ci_u32_e32 v7, vcc_lo, 0, v8, vcc_lo
	v_add_co_u32 v4, vcc_lo, v4, v9
	v_add_co_ci_u32_e32 v4, vcc_lo, v7, v10, vcc_lo
	v_add_co_ci_u32_e32 v7, vcc_lo, 0, v12, vcc_lo
	v_add_co_u32 v4, vcc_lo, v4, v11
	v_add_co_ci_u32_e32 v9, vcc_lo, 0, v7, vcc_lo
	v_mul_lo_u32 v10, s19, v4
	v_mad_u64_u32 v[7:8], null, s18, v4, 0
	v_mul_lo_u32 v11, s18, v9
	v_sub_co_u32 v7, vcc_lo, v5, v7
	v_add3_u32 v8, v8, v11, v10
	v_sub_nc_u32_e32 v10, v6, v8
	v_subrev_co_ci_u32_e64 v10, s0, s19, v10, vcc_lo
	v_add_co_u32 v11, s0, v4, 2
	v_add_co_ci_u32_e64 v12, s0, 0, v9, s0
	v_sub_co_u32 v13, s0, v7, s18
	v_sub_co_ci_u32_e32 v8, vcc_lo, v6, v8, vcc_lo
	v_subrev_co_ci_u32_e64 v10, s0, 0, v10, s0
	v_cmp_le_u32_e32 vcc_lo, s18, v13
	v_cmp_eq_u32_e64 s0, s19, v8
	v_cndmask_b32_e64 v13, 0, -1, vcc_lo
	v_cmp_le_u32_e32 vcc_lo, s19, v10
	v_cndmask_b32_e64 v14, 0, -1, vcc_lo
	v_cmp_le_u32_e32 vcc_lo, s18, v7
	;; [unrolled: 2-line block ×3, first 2 shown]
	v_cndmask_b32_e64 v15, 0, -1, vcc_lo
	v_cmp_eq_u32_e32 vcc_lo, s19, v10
	v_cndmask_b32_e64 v7, v15, v7, s0
	v_cndmask_b32_e32 v10, v14, v13, vcc_lo
	v_add_co_u32 v13, vcc_lo, v4, 1
	v_add_co_ci_u32_e32 v14, vcc_lo, 0, v9, vcc_lo
	v_cmp_ne_u32_e32 vcc_lo, 0, v10
	v_cndmask_b32_e32 v8, v14, v12, vcc_lo
	v_cndmask_b32_e32 v10, v13, v11, vcc_lo
	v_cmp_ne_u32_e32 vcc_lo, 0, v7
	v_cndmask_b32_e32 v8, v9, v8, vcc_lo
	v_cndmask_b32_e32 v7, v4, v10, vcc_lo
.LBB0_4:                                ;   in Loop: Header=BB0_2 Depth=1
	s_andn2_saveexec_b32 s0, s1
	s_cbranch_execz .LBB0_6
; %bb.5:                                ;   in Loop: Header=BB0_2 Depth=1
	v_cvt_f32_u32_e32 v4, s18
	s_sub_i32 s1, 0, s18
	v_rcp_iflag_f32_e32 v4, v4
	v_mul_f32_e32 v4, 0x4f7ffffe, v4
	v_cvt_u32_f32_e32 v4, v4
	v_mul_lo_u32 v7, s1, v4
	v_mul_hi_u32 v7, v4, v7
	v_add_nc_u32_e32 v4, v4, v7
	v_mul_hi_u32 v4, v5, v4
	v_mul_lo_u32 v7, v4, s18
	v_add_nc_u32_e32 v8, 1, v4
	v_sub_nc_u32_e32 v7, v5, v7
	v_subrev_nc_u32_e32 v9, s18, v7
	v_cmp_le_u32_e32 vcc_lo, s18, v7
	v_cndmask_b32_e32 v7, v7, v9, vcc_lo
	v_cndmask_b32_e32 v4, v4, v8, vcc_lo
	v_cmp_le_u32_e32 vcc_lo, s18, v7
	v_add_nc_u32_e32 v8, 1, v4
	v_cndmask_b32_e32 v7, v4, v8, vcc_lo
	v_mov_b32_e32 v8, v3
.LBB0_6:                                ;   in Loop: Header=BB0_2 Depth=1
	s_or_b32 exec_lo, exec_lo, s0
	s_load_dwordx2 s[0:1], s[6:7], 0x0
	v_mul_lo_u32 v4, v8, s18
	v_mul_lo_u32 v11, v7, s19
	v_mad_u64_u32 v[9:10], null, v7, s18, 0
	s_add_u32 s16, s16, 1
	s_addc_u32 s17, s17, 0
	s_add_u32 s6, s6, 8
	s_addc_u32 s7, s7, 0
	;; [unrolled: 2-line block ×3, first 2 shown]
	v_add3_u32 v4, v10, v11, v4
	v_sub_co_u32 v5, vcc_lo, v5, v9
	v_sub_co_ci_u32_e32 v4, vcc_lo, v6, v4, vcc_lo
	s_waitcnt lgkmcnt(0)
	v_mul_lo_u32 v6, s1, v5
	v_mul_lo_u32 v4, s0, v4
	v_mad_u64_u32 v[1:2], null, s0, v5, v[1:2]
	v_cmp_ge_u64_e64 s0, s[16:17], s[10:11]
	s_and_b32 vcc_lo, exec_lo, s0
	v_add3_u32 v2, v6, v2, v4
	s_cbranch_vccnz .LBB0_9
; %bb.7:                                ;   in Loop: Header=BB0_2 Depth=1
	v_mov_b32_e32 v5, v7
	v_mov_b32_e32 v6, v8
	s_branch .LBB0_2
.LBB0_8:
	v_mov_b32_e32 v8, v6
	v_mov_b32_e32 v7, v5
.LBB0_9:
	s_lshl_b64 s[0:1], s[10:11], 3
	v_mul_hi_u32 v3, 0x1681682, v0
	s_add_u32 s0, s12, s0
	s_addc_u32 s1, s13, s1
                                        ; implicit-def: $vgpr16
                                        ; implicit-def: $vgpr13
                                        ; implicit-def: $vgpr11
                                        ; implicit-def: $vgpr19
                                        ; implicit-def: $vgpr17
                                        ; implicit-def: $vgpr10
                                        ; implicit-def: $vgpr14
                                        ; implicit-def: $vgpr21
                                        ; implicit-def: $vgpr18
                                        ; implicit-def: $vgpr20
                                        ; implicit-def: $vgpr12
                                        ; implicit-def: $vgpr22
	s_load_dwordx2 s[0:1], s[0:1], 0x0
	s_load_dwordx2 s[4:5], s[4:5], 0x20
	s_waitcnt lgkmcnt(0)
	v_mul_lo_u32 v6, s0, v8
	v_mul_lo_u32 v9, s1, v7
	v_mad_u64_u32 v[4:5], null, s0, v7, v[1:2]
	v_mul_u32_u24_e32 v1, 0xb6, v3
	v_cmp_gt_u64_e32 vcc_lo, s[4:5], v[7:8]
	v_mov_b32_e32 v2, 0
                                        ; implicit-def: $vgpr7
	v_sub_nc_u32_e32 v3, v0, v1
	v_add3_u32 v5, v9, v5, v6
	v_mov_b32_e32 v9, 0
                                        ; implicit-def: $vgpr6
	v_lshlrev_b64 v[0:1], 2, v[4:5]
	v_mov_b32_e32 v4, 0
	s_and_saveexec_b32 s1, vcc_lo
	s_cbranch_execz .LBB0_13
; %bb.10:
	v_mov_b32_e32 v4, 0
	v_add_co_u32 v2, s0, s2, v0
	v_add_co_ci_u32_e64 v7, s0, s3, v1, s0
	v_lshlrev_b64 v[5:6], 2, v[3:4]
	v_mov_b32_e32 v9, v4
	s_mov_b32 s4, exec_lo
                                        ; implicit-def: $vgpr22
                                        ; implicit-def: $vgpr12
	v_add_co_u32 v5, s0, v2, v5
	v_add_co_ci_u32_e64 v6, s0, v7, v6, s0
	v_add_co_u32 v7, s0, 0x800, v5
	v_add_co_ci_u32_e64 v8, s0, 0, v6, s0
	s_clause 0x5
	global_load_dword v16, v[5:6], off
	global_load_dword v19, v[5:6], off offset:728
	global_load_dword v10, v[7:8], off offset:1228
	;; [unrolled: 1-line block ×5, first 2 shown]
	v_cmpx_gt_u32_e32 0x5b, v3
	s_cbranch_execz .LBB0_12
; %bb.11:
	v_add_co_u32 v5, s0, 0x1000, v5
	v_add_co_ci_u32_e64 v6, s0, 0, v6, s0
	s_clause 0x1
	global_load_dword v4, v[7:8], off offset:136
	global_load_dword v22, v[5:6], off offset:636
	s_waitcnt vmcnt(1)
	v_lshrrev_b32_e32 v9, 16, v4
	s_waitcnt vmcnt(0)
	v_lshrrev_b32_e32 v12, 16, v22
.LBB0_12:
	s_or_b32 exec_lo, exec_lo, s4
	s_waitcnt vmcnt(5)
	v_lshrrev_b32_e32 v6, 16, v16
	s_waitcnt vmcnt(1)
	v_lshrrev_b32_e32 v13, 16, v11
	v_lshrrev_b32_e32 v7, 16, v19
	v_lshrrev_b32_e32 v17, 16, v10
	s_waitcnt vmcnt(0)
	v_lshrrev_b32_e32 v14, 16, v21
	v_lshrrev_b32_e32 v18, 16, v20
	v_mov_b32_e32 v2, v3
.LBB0_13:
	s_or_b32 exec_lo, exec_lo, s1
	v_sub_f16_e32 v15, v16, v11
	v_sub_f16_e32 v8, v19, v10
	;; [unrolled: 1-line block ×4, first 2 shown]
	v_lshl_add_u32 v22, v3, 2, 0
	v_fma_f16 v5, v16, 2.0, -v15
	v_fma_f16 v20, v19, 2.0, -v8
	;; [unrolled: 1-line block ×3, first 2 shown]
	v_add_nc_u32_e32 v21, 0x222, v3
	v_fma_f16 v16, v4, 2.0, -v11
	v_lshlrev_b32_e32 v4, 1, v3
	v_pack_b32_f16 v23, v5, v15
	v_pack_b32_f16 v24, v20, v8
	v_cmp_gt_u32_e64 s1, 0x5b, v3
	v_lshl_add_u32 v31, v21, 2, 0
	v_pack_b32_f16 v25, v19, v10
	ds_write2_b32 v22, v23, v24 offset1:182
	ds_write_b32 v22, v25 offset:1456
	s_and_saveexec_b32 s0, s1
	s_cbranch_execz .LBB0_15
; %bb.14:
	v_perm_b32 v21, v11, v16, 0x5040100
	ds_write_b32 v31, v21
.LBB0_15:
	s_or_b32 exec_lo, exec_lo, s0
	v_add_nc_u32_e32 v34, 0x2d8, v22
	v_add_nc_u32_e32 v35, 0x5b0, v22
	v_cmp_gt_u32_e64 s0, 0x62, v3
	v_sub_nc_u32_e32 v4, v22, v4
	s_waitcnt lgkmcnt(0)
	s_barrier
	buffer_gl0_inv
                                        ; implicit-def: $vgpr23
                                        ; implicit-def: $vgpr25
                                        ; implicit-def: $vgpr26
                                        ; implicit-def: $vgpr21
                                        ; implicit-def: $vgpr27
	s_and_saveexec_b32 s4, s0
	s_cbranch_execz .LBB0_17
; %bb.16:
	ds_read_u16 v5, v4
	ds_read_u16 v15, v4 offset:196
	ds_read_u16 v20, v4 offset:392
	;; [unrolled: 1-line block ×12, first 2 shown]
.LBB0_17:
	s_or_b32 exec_lo, exec_lo, s4
	v_sub_f16_e32 v30, v6, v13
	v_sub_f16_e32 v24, v7, v17
	;; [unrolled: 1-line block ×4, first 2 shown]
	s_waitcnt lgkmcnt(0)
	v_fma_f16 v12, v6, 2.0, -v30
	v_fma_f16 v33, v7, 2.0, -v24
	;; [unrolled: 1-line block ×4, first 2 shown]
	s_barrier
	v_pack_b32_f16 v6, v12, v30
	v_pack_b32_f16 v7, v33, v24
	;; [unrolled: 1-line block ×3, first 2 shown]
	buffer_gl0_inv
	ds_write_b32 v22, v6
	ds_write_b32 v34, v7
	;; [unrolled: 1-line block ×3, first 2 shown]
	s_and_saveexec_b32 s4, s1
	s_cbranch_execz .LBB0_19
; %bb.18:
	v_perm_b32 v6, v28, v39, 0x5040100
	ds_write_b32 v31, v6
.LBB0_19:
	s_or_b32 exec_lo, exec_lo, s4
	s_waitcnt lgkmcnt(0)
	s_barrier
	buffer_gl0_inv
                                        ; implicit-def: $vgpr40
                                        ; implicit-def: $vgpr41
                                        ; implicit-def: $vgpr42
                                        ; implicit-def: $vgpr43
                                        ; implicit-def: $vgpr44
	s_and_saveexec_b32 s1, s0
	s_cbranch_execz .LBB0_21
; %bb.20:
	ds_read_u16 v12, v4
	ds_read_u16 v30, v4 offset:196
	ds_read_u16 v33, v4 offset:392
	;; [unrolled: 1-line block ×12, first 2 shown]
.LBB0_21:
	s_or_b32 exec_lo, exec_lo, s1
	v_and_b32_e32 v4, 1, v3
	v_mul_u32_u24_e32 v6, 12, v4
	v_lshlrev_b32_e32 v6, 2, v6
	s_clause 0x2
	global_load_dwordx4 v[45:48], v6, s[8:9]
	global_load_dwordx4 v[49:52], v6, s[8:9] offset:16
	global_load_dwordx4 v[53:56], v6, s[8:9] offset:32
	s_waitcnt vmcnt(0) lgkmcnt(0)
	s_barrier
	buffer_gl0_inv
	v_mul_f16_sdwa v31, v33, v46 dst_sel:DWORD dst_unused:UNUSED_PAD src0_sel:DWORD src1_sel:WORD_1
	v_mul_f16_sdwa v34, v30, v45 dst_sel:DWORD dst_unused:UNUSED_PAD src0_sel:DWORD src1_sel:WORD_1
	;; [unrolled: 1-line block ×23, first 2 shown]
	v_fmac_f16_e32 v31, v20, v46
	v_mul_f16_sdwa v20, v23, v56 dst_sel:DWORD dst_unused:UNUSED_PAD src0_sel:DWORD src1_sel:WORD_1
	v_fmac_f16_e32 v34, v15, v45
	v_fma_f16 v37, v30, v45, -v36
	v_fma_f16 v36, v33, v46, -v57
	v_fmac_f16_e32 v18, v8, v47
	v_fma_f16 v24, v24, v47, -v58
	v_fmac_f16_e32 v14, v19, v48
	;; [unrolled: 2-line block ×10, first 2 shown]
	v_fma_f16 v32, v40, v56, -v20
	v_lshrrev_b32_e32 v8, 1, v3
	s_and_saveexec_b32 s1, s0
	s_cbranch_execz .LBB0_23
; %bb.22:
	v_sub_f16_e32 v25, v37, v32
	v_add_f16_e32 v23, v34, v38
	v_sub_f16_e32 v27, v36, v33
	v_add_f16_e32 v26, v31, v35
	v_sub_f16_e32 v29, v24, v30
	v_mul_f16_e32 v45, 0xb3a8, v25
	v_add_f16_e32 v28, v18, v22
	v_mul_f16_e32 v46, 0x3770, v27
	v_sub_f16_e32 v40, v19, v21
	v_mul_f16_e32 v47, 0xb94e, v29
	v_fma_f16 v54, v23, 0xbbc4, -v45
	v_fmac_f16_e32 v45, 0xbbc4, v23
	v_fma_f16 v55, v26, 0x3b15, -v46
	v_mul_f16_e32 v51, 0xb94e, v25
	v_fma_f16 v56, v28, 0xb9fd, -v47
	v_add_f16_e32 v54, v5, v54
	v_fmac_f16_e32 v46, 0x3b15, v26
	v_add_f16_e32 v45, v5, v45
	v_add_f16_e32 v39, v14, v17
	v_sub_f16_e32 v42, v15, v16
	v_add_f16_e32 v54, v55, v54
	v_mul_f16_e32 v48, 0x3a95, v40
	v_mul_f16_e32 v52, 0x3bf1, v27
	v_fmac_f16_e32 v47, 0xb9fd, v28
	v_add_f16_e32 v45, v46, v45
	v_add_f16_e32 v46, v56, v54
	v_fma_f16 v54, v23, 0xb9fd, -v51
	v_add_f16_e32 v41, v9, v13
	v_mul_f16_e32 v49, 0xbb7b, v42
	v_mul_f16_e32 v53, 0xba95, v29
	v_fma_f16 v57, v39, 0x388b, -v48
	v_fmac_f16_e32 v48, 0x388b, v39
	v_fma_f16 v55, v26, 0x2fb7, -v52
	v_add_f16_e32 v45, v47, v45
	v_add_f16_e32 v47, v5, v54
	v_sub_f16_e32 v44, v10, v11
	v_fma_f16 v58, v41, 0xb5ac, -v49
	v_fmac_f16_e32 v49, 0xb5ac, v41
	v_add_f16_e32 v45, v48, v45
	v_add_f16_e32 v47, v55, v47
	v_fma_f16 v48, v28, 0x388b, -v53
	v_mul_f16_e32 v54, 0x33a8, v40
	v_add_f16_e32 v43, v6, v7
	v_mul_f16_e32 v50, 0x3bf1, v44
	v_add_f16_e32 v45, v49, v45
	v_fmac_f16_e32 v51, 0xb9fd, v23
	v_add_f16_e32 v47, v48, v47
	v_fma_f16 v48, v39, 0xbbc4, -v54
	v_mul_f16_e32 v49, 0x3770, v42
	v_fma_f16 v59, v43, 0x2fb7, -v50
	v_fmac_f16_e32 v50, 0x2fb7, v43
	v_add_f16_e32 v51, v5, v51
	v_fmac_f16_e32 v52, 0x2fb7, v26
	v_add_f16_e32 v47, v48, v47
	v_fma_f16 v48, v41, 0x3b15, -v49
	v_mul_f16_e32 v55, 0xbb7b, v25
	v_add_f16_e32 v45, v50, v45
	v_add_f16_e32 v50, v52, v51
	v_fmac_f16_e32 v53, 0x388b, v28
	v_add_f16_e32 v47, v48, v47
	v_fma_f16 v48, v23, 0xb5ac, -v55
	v_mul_f16_e32 v51, 0x394e, v27
	v_fmac_f16_e32 v54, 0xbbc4, v39
	v_add_f16_e32 v50, v53, v50
	v_mul_f16_e32 v56, 0x3770, v29
	v_add_f16_e32 v48, v5, v48
	v_fma_f16 v53, v26, 0xb9fd, -v51
	v_mul_f16_e32 v52, 0xbb7b, v44
	v_add_f16_e32 v50, v54, v50
	v_fmac_f16_e32 v49, 0x3b15, v41
	v_mul_f16_e32 v54, 0xbbf1, v40
	v_add_f16_e32 v48, v53, v48
	v_fma_f16 v53, v28, 0x3b15, -v56
	v_add_f16_e32 v46, v57, v46
	v_fma_f16 v57, v43, 0xb5ac, -v52
	v_add_f16_e32 v49, v49, v50
	v_fmac_f16_e32 v55, 0xb5ac, v23
	v_add_f16_e32 v48, v53, v48
	v_fma_f16 v50, v39, 0x2fb7, -v54
	v_mul_f16_e32 v53, 0x33a8, v42
	v_add_f16_e32 v47, v57, v47
	v_fmac_f16_e32 v52, 0xb5ac, v43
	v_add_f16_e32 v55, v5, v55
	v_fmac_f16_e32 v51, 0xb9fd, v26
	v_add_f16_e32 v48, v50, v48
	v_fma_f16 v50, v41, 0xbbc4, -v53
	v_mul_f16_e32 v57, 0xbbf1, v25
	v_add_f16_e32 v49, v52, v49
	v_add_f16_e32 v51, v51, v55
	v_fmac_f16_e32 v56, 0x3b15, v28
	v_add_f16_e32 v48, v50, v48
	v_fma_f16 v50, v23, 0x2fb7, -v57
	v_mul_f16_e32 v52, 0xb3a8, v27
	v_add_f16_e32 v46, v58, v46
	v_add_f16_e32 v51, v56, v51
	v_fmac_f16_e32 v54, 0x2fb7, v39
	v_add_f16_e32 v50, v5, v50
	v_fma_f16 v56, v26, 0xbbc4, -v52
	v_mul_f16_e32 v58, 0x3b7b, v29
	v_fmac_f16_e32 v57, 0x2fb7, v23
	v_add_f16_e32 v51, v54, v51
	v_fmac_f16_e32 v53, 0xbbc4, v41
	v_add_f16_e32 v50, v56, v50
	v_fma_f16 v54, v28, 0xb5ac, -v58
	v_mul_f16_e32 v56, 0x3770, v40
	v_add_f16_e32 v57, v5, v57
	v_fmac_f16_e32 v52, 0xbbc4, v26
	v_add_f16_e32 v20, v5, v34
	v_mul_f16_e32 v55, 0x3a95, v44
	v_add_f16_e32 v51, v53, v51
	v_add_f16_e32 v50, v54, v50
	v_fma_f16 v53, v39, 0x3b15, -v56
	v_mul_f16_e32 v54, 0xba95, v42
	v_add_f16_e32 v52, v52, v57
	v_fmac_f16_e32 v58, 0xb5ac, v28
	v_add_f16_e32 v20, v20, v31
	v_add_f16_e32 v46, v59, v46
	v_fma_f16 v59, v43, 0x388b, -v55
	v_fmac_f16_e32 v55, 0x388b, v43
	v_add_f16_e32 v50, v53, v50
	v_fma_f16 v53, v41, 0x388b, -v54
	v_add_f16_e32 v52, v58, v52
	v_fmac_f16_e32 v56, 0x3b15, v39
	v_add_f16_e32 v20, v20, v18
	v_add_f16_e32 v51, v55, v51
	v_mul_f16_e32 v55, 0xba95, v25
	v_add_f16_e32 v50, v53, v50
	v_mul_f16_e32 v53, 0xb94e, v44
	v_add_f16_e32 v52, v56, v52
	v_fmac_f16_e32 v54, 0x388b, v41
	v_add_f16_e32 v20, v20, v14
	v_add_f16_e32 v48, v59, v48
	v_fma_f16 v57, v23, 0x388b, -v55
	v_mul_f16_e32 v59, 0xbb7b, v27
	v_fma_f16 v58, v43, 0xb9fd, -v53
	v_add_f16_e32 v52, v54, v52
	v_fmac_f16_e32 v53, 0xb9fd, v43
	v_fmac_f16_e32 v55, 0x388b, v23
	v_add_f16_e32 v20, v20, v9
	v_fma_f16 v60, v26, 0xb5ac, -v59
	v_fmac_f16_e32 v59, 0xb5ac, v26
	v_add_f16_e32 v52, v53, v52
	v_add_f16_e32 v53, v5, v55
	v_mul_f16_e32 v25, 0xb770, v25
	v_add_f16_e32 v20, v20, v6
	v_add_f16_e32 v57, v5, v57
	v_mul_f16_e32 v27, 0xba95, v27
	v_add_f16_e32 v53, v59, v53
	v_fma_f16 v59, v23, 0x3b15, -v25
	v_fmac_f16_e32 v25, 0x3b15, v23
	v_add_f16_e32 v20, v20, v7
	v_mul_f16_e32 v61, 0xb3a8, v29
	v_add_f16_e32 v56, v60, v57
	v_fma_f16 v60, v26, 0x388b, -v27
	v_mul_f16_e32 v29, 0xbbf1, v29
	v_add_f16_e32 v25, v5, v25
	v_fmac_f16_e32 v27, 0x388b, v26
	v_add_f16_e32 v20, v20, v13
	v_add_f16_e32 v5, v5, v59
	;; [unrolled: 1-line block ×3, first 2 shown]
	v_fma_f16 v57, v28, 0xbbc4, -v61
	v_mul_f16_e32 v58, 0x394e, v40
	v_fma_f16 v26, v28, 0x2fb7, -v29
	v_mul_f16_e32 v40, 0xbb7b, v40
	v_add_f16_e32 v25, v27, v25
	v_fmac_f16_e32 v29, 0x2fb7, v28
	v_fmac_f16_e32 v61, 0xbbc4, v28
	v_add_f16_e32 v20, v20, v17
	v_add_f16_e32 v5, v60, v5
	;; [unrolled: 1-line block ×3, first 2 shown]
	v_mul_f16_e32 v57, 0x3bf1, v42
	v_fma_f16 v28, v39, 0xb5ac, -v40
	v_mul_f16_e32 v42, 0xb94e, v42
	v_add_f16_e32 v25, v29, v25
	v_fmac_f16_e32 v40, 0xb5ac, v39
	v_fma_f16 v56, v39, 0xb9fd, -v58
	v_add_f16_e32 v53, v61, v53
	v_fmac_f16_e32 v58, 0xb9fd, v39
	v_add_f16_e32 v20, v20, v22
	v_add_f16_e32 v5, v26, v5
	v_mul_u32_u24_e32 v39, 26, v8
	v_fma_f16 v26, v41, 0xb9fd, -v42
	v_mul_f16_e32 v29, 0xb3a8, v44
	v_add_f16_e32 v25, v40, v25
	v_fmac_f16_e32 v42, 0xb9fd, v41
	v_add_f16_e32 v54, v56, v54
	v_fma_f16 v55, v41, 0x2fb7, -v57
	v_mul_f16_e32 v56, 0x3770, v44
	v_add_f16_e32 v27, v58, v53
	v_fmac_f16_e32 v57, 0x2fb7, v41
	v_add_f16_e32 v20, v20, v35
	v_add_f16_e32 v5, v28, v5
	v_or_b32_e32 v39, v39, v4
	v_fma_f16 v28, v43, 0xbbc4, -v29
	v_add_f16_e32 v25, v42, v25
	v_fmac_f16_e32 v29, 0xbbc4, v43
	v_fma_f16 v23, v43, 0x3b15, -v56
	v_add_f16_e32 v27, v57, v27
	v_fmac_f16_e32 v56, 0x3b15, v43
	v_add_f16_e32 v20, v20, v38
	v_add_f16_e32 v40, v55, v54
	;; [unrolled: 1-line block ×3, first 2 shown]
	v_lshl_add_u32 v26, v39, 1, 0
	v_add_f16_e32 v25, v29, v25
	v_add_f16_e32 v27, v56, v27
	;; [unrolled: 1-line block ×4, first 2 shown]
	ds_write_b16 v26, v20
	ds_write_b16 v26, v25 offset:4
	ds_write_b16 v26, v27 offset:8
	;; [unrolled: 1-line block ×12, first 2 shown]
.LBB0_23:
	s_or_b32 exec_lo, exec_lo, s1
	v_lshl_add_u32 v5, v3, 1, 0
	s_waitcnt lgkmcnt(0)
	s_barrier
	buffer_gl0_inv
	ds_read_u16 v20, v5
	ds_read_u16 v29, v5 offset:364
	ds_read_u16 v28, v5 offset:728
	ds_read_u16 v26, v5 offset:1092
	ds_read_u16 v25, v5 offset:1456
	ds_read_u16 v23, v5 offset:1820
	ds_read_u16 v27, v5 offset:2184
	s_waitcnt lgkmcnt(0)
	s_barrier
	buffer_gl0_inv
	s_and_saveexec_b32 s1, s0
	s_cbranch_execz .LBB0_25
; %bb.24:
	v_add_f16_e32 v39, v12, v37
	v_sub_f16_e32 v31, v31, v35
	v_add_f16_e32 v37, v37, v32
	v_sub_f16_e32 v34, v34, v38
	v_add_f16_e32 v38, v36, v33
	v_add_f16_e32 v35, v39, v36
	v_sub_f16_e32 v18, v18, v22
	v_mul_f16_e32 v39, 0x388b, v37
	v_mul_f16_e32 v36, 0x3b15, v37
	;; [unrolled: 1-line block ×3, first 2 shown]
	v_add_f16_e32 v35, v35, v24
	v_mul_f16_e32 v40, 0x2fb7, v37
	v_fmamk_f16 v48, v34, 0x3a95, v39
	v_fmac_f16_e32 v39, 0xba95, v34
	v_mul_f16_e32 v41, 0xb5ac, v37
	v_add_f16_e32 v35, v35, v19
	v_mul_f16_e32 v42, 0xb9fd, v37
	v_mul_f16_e32 v37, 0xbbc4, v37
	v_fmamk_f16 v53, v31, 0x3b7b, v44
	v_fmac_f16_e32 v44, 0xbb7b, v31
	v_add_f16_e32 v35, v35, v15
	v_add_f16_e32 v39, v12, v39
	v_mul_f16_e32 v43, 0x388b, v38
	v_mul_f16_e32 v45, 0xbbc4, v38
	v_fmamk_f16 v47, v34, 0x3770, v36
	v_add_f16_e32 v35, v35, v10
	v_fmac_f16_e32 v36, 0xb770, v34
	v_fmamk_f16 v49, v34, 0x3bf1, v40
	v_fmac_f16_e32 v40, 0xbbf1, v34
	v_fmamk_f16 v50, v34, 0x3b7b, v41
	v_add_f16_e32 v35, v35, v11
	v_fmac_f16_e32 v41, 0xbb7b, v34
	v_fmamk_f16 v51, v34, 0x394e, v42
	v_fmac_f16_e32 v42, 0xb94e, v34
	v_fmamk_f16 v52, v34, 0x33a8, v37
	v_add_f16_e32 v35, v35, v16
	v_fmac_f16_e32 v37, 0xb3a8, v34
	v_add_f16_e32 v39, v44, v39
	v_mul_f16_e32 v44, 0x2fb7, v38
	v_add_f16_e32 v24, v24, v30
	v_add_f16_e32 v35, v35, v21
	v_mul_f16_e32 v46, 0xb9fd, v38
	v_fmamk_f16 v34, v31, 0x3a95, v43
	v_fmac_f16_e32 v43, 0xba95, v31
	v_add_f16_e32 v47, v12, v47
	v_add_f16_e32 v35, v35, v30
	;; [unrolled: 1-line block ×13, first 2 shown]
	v_fmamk_f16 v37, v31, 0x33a8, v45
	v_fmac_f16_e32 v45, 0xb3a8, v31
	v_fmamk_f16 v30, v31, 0xbbf1, v44
	v_mul_f16_e32 v38, 0x3b15, v38
	v_fmac_f16_e32 v44, 0x3bf1, v31
	v_mul_f16_e32 v22, 0x2fb7, v24
	v_add_f16_e32 v34, v34, v47
	v_add_f16_e32 v36, v43, v36
	v_fmamk_f16 v43, v31, 0xb94e, v46
	v_fmac_f16_e32 v46, 0x394e, v31
	v_add_f16_e32 v40, v45, v40
	v_fmamk_f16 v45, v31, 0xb770, v38
	v_fmac_f16_e32 v38, 0x3770, v31
	v_add_f16_e32 v31, v44, v42
	v_fmamk_f16 v42, v18, 0x3bf1, v22
	v_mul_f16_e32 v44, 0xbbc4, v24
	v_add_f16_e32 v32, v33, v32
	v_add_f16_e32 v33, v53, v48
	;; [unrolled: 1-line block ×4, first 2 shown]
	v_fmamk_f16 v38, v18, 0x33a8, v44
	v_mul_f16_e32 v42, 0xb5ac, v24
	v_add_f16_e32 v37, v37, v49
	v_fmac_f16_e32 v22, 0xbbf1, v18
	v_add_f16_e32 v19, v19, v21
	v_add_f16_e32 v33, v38, v33
	v_fmamk_f16 v38, v18, 0xbb7b, v42
	v_add_f16_e32 v30, v30, v51
	v_fmac_f16_e32 v44, 0xb3a8, v18
	v_add_f16_e32 v22, v22, v36
	v_mul_f16_e32 v36, 0x3b15, v24
	v_add_f16_e32 v37, v38, v37
	v_mul_f16_e32 v38, 0x388b, v24
	v_mul_f16_e32 v24, 0xb9fd, v24
	v_sub_f16_e32 v14, v14, v17
	v_mul_f16_e32 v17, 0xb5ac, v19
	v_add_f16_e32 v39, v44, v39
	v_fmamk_f16 v21, v18, 0x3a95, v38
	v_fmac_f16_e32 v38, 0xba95, v18
	v_fmac_f16_e32 v42, 0x3b7b, v18
	v_fmamk_f16 v44, v18, 0xb770, v36
	v_fmac_f16_e32 v36, 0x3770, v18
	v_add_f16_e32 v21, v21, v30
	v_fmamk_f16 v30, v18, 0x394e, v24
	v_add_f16_e32 v31, v38, v31
	v_fmac_f16_e32 v24, 0xb94e, v18
	v_fmamk_f16 v18, v14, 0x3b7b, v17
	v_mul_f16_e32 v38, 0xb9fd, v19
	v_fmac_f16_e32 v17, 0xbb7b, v14
	v_add_f16_e32 v41, v46, v41
	v_add_f16_e32 v12, v24, v12
	;; [unrolled: 1-line block ×3, first 2 shown]
	v_fmamk_f16 v24, v14, 0xb94e, v38
	v_mul_f16_e32 v34, 0x3b15, v19
	v_add_f16_e32 v35, v45, v35
	v_add_f16_e32 v17, v17, v22
	v_fmac_f16_e32 v38, 0x394e, v14
	v_mul_f16_e32 v22, 0x2fb7, v19
	v_add_f16_e32 v24, v24, v33
	v_fmamk_f16 v33, v14, 0xb770, v34
	v_add_f16_e32 v36, v36, v41
	v_add_f16_e32 v30, v30, v35
	;; [unrolled: 1-line block ×3, first 2 shown]
	v_fmamk_f16 v38, v14, 0x3bf1, v22
	v_fmac_f16_e32 v22, 0xbbf1, v14
	v_add_f16_e32 v33, v33, v37
	v_mul_f16_e32 v37, 0xbbc4, v19
	v_add_f16_e32 v15, v15, v16
	v_mul_f16_e32 v16, 0x388b, v19
	v_add_f16_e32 v22, v22, v36
	v_sub_f16_e32 v9, v9, v13
	v_fmamk_f16 v19, v14, 0xb3a8, v37
	v_fmac_f16_e32 v37, 0x33a8, v14
	v_mul_f16_e32 v13, 0xb9fd, v15
	v_fmamk_f16 v36, v14, 0xba95, v16
	v_fmac_f16_e32 v16, 0x3a95, v14
	v_add_f16_e32 v40, v42, v40
	v_fmac_f16_e32 v34, 0x3770, v14
	v_add_f16_e32 v19, v19, v21
	v_add_f16_e32 v21, v37, v31
	v_fmamk_f16 v14, v9, 0x394e, v13
	v_mul_f16_e32 v31, 0x2fb7, v15
	v_fmac_f16_e32 v13, 0xb94e, v9
	v_add_f16_e32 v12, v16, v12
	v_mul_f16_e32 v16, 0x388b, v15
	v_add_f16_e32 v34, v34, v40
	v_add_f16_e32 v30, v36, v30
	;; [unrolled: 1-line block ×3, first 2 shown]
	v_fmamk_f16 v18, v9, 0xbbf1, v31
	v_add_f16_e32 v13, v13, v17
	v_fmac_f16_e32 v31, 0x3bf1, v9
	v_mul_f16_e32 v17, 0xbbc4, v15
	v_fmamk_f16 v36, v9, 0x3a95, v16
	v_fmac_f16_e32 v16, 0xba95, v9
	v_add_f16_e32 v18, v18, v24
	v_add_f16_e32 v24, v31, v35
	v_fmamk_f16 v31, v9, 0xb3a8, v17
	v_fmac_f16_e32 v17, 0x33a8, v9
	v_add_f16_e32 v16, v16, v34
	v_mul_f16_e32 v34, 0x3b15, v15
	v_mul_f16_e32 v15, 0xb5ac, v15
	v_add_f16_e32 v10, v10, v11
	v_add_f16_e32 v17, v17, v22
	v_sub_f16_e32 v6, v6, v7
	v_fmamk_f16 v11, v9, 0xb770, v34
	v_fmac_f16_e32 v34, 0x3770, v9
	v_fmamk_f16 v22, v9, 0x3b7b, v15
	v_mul_f16_e32 v7, 0xbbc4, v10
	v_fmac_f16_e32 v15, 0xbb7b, v9
	v_add_f16_e32 v43, v43, v50
	v_add_f16_e32 v11, v11, v19
	;; [unrolled: 1-line block ×3, first 2 shown]
	v_fmamk_f16 v21, v6, 0x33a8, v7
	v_add_f16_e32 v12, v15, v12
	v_mul_f16_e32 v15, 0xb9fd, v10
	v_add_f16_e32 v42, v44, v43
	v_add_f16_e32 v9, v22, v30
	v_fmac_f16_e32 v7, 0xb3a8, v6
	v_mul_f16_e32 v22, 0x3b15, v10
	v_add_f16_e32 v14, v21, v14
	v_fmamk_f16 v21, v6, 0x394e, v15
	v_fmac_f16_e32 v15, 0xb94e, v6
	v_mul_u32_u24_e32 v8, 26, v8
	v_add_f16_e32 v38, v38, v42
	v_add_f16_e32 v7, v7, v13
	v_fmamk_f16 v13, v6, 0xb770, v22
	v_fmac_f16_e32 v22, 0x3770, v6
	v_mul_f16_e32 v30, 0x388b, v10
	v_add_f16_e32 v15, v15, v16
	v_mul_f16_e32 v16, 0xb5ac, v10
	v_mul_f16_e32 v10, 0x2fb7, v10
	v_or_b32_e32 v4, v8, v4
	v_add_f16_e32 v33, v36, v33
	v_add_f16_e32 v31, v31, v38
	;; [unrolled: 1-line block ×4, first 2 shown]
	v_fmamk_f16 v22, v6, 0xba95, v30
	v_fmac_f16_e32 v30, 0x3a95, v6
	v_fmamk_f16 v8, v6, 0x3b7b, v16
	v_fmac_f16_e32 v16, 0xbb7b, v6
	;; [unrolled: 2-line block ×3, first 2 shown]
	v_lshl_add_u32 v4, v4, 1, 0
	v_add_f16_e32 v21, v21, v33
	v_add_f16_e32 v22, v22, v31
	;; [unrolled: 1-line block ×7, first 2 shown]
	ds_write_b16 v4, v32
	ds_write_b16 v4, v14 offset:4
	ds_write_b16 v4, v13 offset:8
	;; [unrolled: 1-line block ×12, first 2 shown]
.LBB0_25:
	s_or_b32 exec_lo, exec_lo, s1
	v_and_b32_e32 v4, 0xff, v3
	v_mov_b32_e32 v7, 6
	s_waitcnt lgkmcnt(0)
	s_barrier
	buffer_gl0_inv
	v_mul_lo_u16 v4, 0x4f, v4
	v_mov_b32_e32 v15, 0x16c
	v_mov_b32_e32 v17, 1
	v_lshrrev_b16 v4, 11, v4
	v_mul_lo_u16 v6, v4, 26
	v_mul_u32_u24_sdwa v4, v4, v15 dst_sel:DWORD dst_unused:UNUSED_PAD src0_sel:WORD_0 src1_sel:DWORD
	v_sub_nc_u16 v12, v3, v6
	v_mul_u32_u24_sdwa v6, v12, v7 dst_sel:DWORD dst_unused:UNUSED_PAD src0_sel:BYTE_0 src1_sel:DWORD
	v_lshlrev_b32_sdwa v12, v17, v12 dst_sel:DWORD dst_unused:UNUSED_PAD src0_sel:DWORD src1_sel:BYTE_0
	v_lshlrev_b32_e32 v10, 2, v6
	v_add3_u32 v12, 0, v4, v12
	s_clause 0x1
	global_load_dwordx4 v[6:9], v10, s[8:9] offset:96
	global_load_dwordx2 v[10:11], v10, s[8:9] offset:112
	ds_read_u16 v13, v5 offset:364
	ds_read_u16 v14, v5 offset:728
	;; [unrolled: 1-line block ×6, first 2 shown]
	ds_read_u16 v15, v5
	s_waitcnt vmcnt(0) lgkmcnt(0)
	s_barrier
	buffer_gl0_inv
	v_mul_f16_sdwa v4, v13, v6 dst_sel:DWORD dst_unused:UNUSED_PAD src0_sel:DWORD src1_sel:WORD_1
	v_mul_f16_sdwa v17, v29, v6 dst_sel:DWORD dst_unused:UNUSED_PAD src0_sel:DWORD src1_sel:WORD_1
	;; [unrolled: 1-line block ×12, first 2 shown]
	v_fmac_f16_e32 v4, v29, v6
	v_fma_f16 v6, v13, v6, -v17
	v_fmac_f16_e32 v22, v28, v7
	v_fmac_f16_e32 v36, v27, v11
	v_fma_f16 v11, v21, v11, -v37
	v_fmac_f16_e32 v34, v23, v10
	v_fma_f16 v7, v14, v7, -v24
	;; [unrolled: 2-line block ×4, first 2 shown]
	v_fma_f16 v10, v19, v10, -v35
	v_add_f16_e32 v13, v4, v36
	v_add_f16_e32 v14, v6, v11
	v_sub_f16_e32 v6, v6, v11
	v_add_f16_e32 v11, v22, v34
	v_sub_f16_e32 v4, v4, v36
	;; [unrolled: 2-line block ×3, first 2 shown]
	v_sub_f16_e32 v7, v7, v10
	v_add_f16_e32 v10, v30, v32
	v_add_f16_e32 v18, v8, v9
	v_sub_f16_e32 v19, v32, v30
	v_sub_f16_e32 v8, v9, v8
	v_add_f16_e32 v9, v11, v13
	v_add_f16_e32 v21, v16, v14
	v_sub_f16_e32 v22, v11, v13
	v_sub_f16_e32 v23, v16, v14
	;; [unrolled: 1-line block ×6, first 2 shown]
	v_add_f16_e32 v24, v19, v17
	v_add_f16_e32 v25, v8, v7
	v_sub_f16_e32 v26, v19, v17
	v_sub_f16_e32 v27, v8, v7
	;; [unrolled: 1-line block ×3, first 2 shown]
	v_add_f16_e32 v9, v10, v9
	v_sub_f16_e32 v7, v7, v6
	v_sub_f16_e32 v19, v4, v19
	;; [unrolled: 1-line block ×3, first 2 shown]
	v_add_f16_e32 v10, v18, v21
	v_add_f16_e32 v4, v24, v4
	;; [unrolled: 1-line block ×3, first 2 shown]
	v_mul_f16_e32 v13, 0x3a52, v13
	v_mul_f16_e32 v14, 0x3a52, v14
	;; [unrolled: 1-line block ×7, first 2 shown]
	v_add_f16_e32 v20, v20, v9
	v_mul_f16_e32 v27, 0xbb00, v7
	v_add_f16_e32 v15, v15, v10
	v_fmamk_f16 v11, v11, 0x2b26, v13
	v_fmamk_f16 v16, v16, 0x2b26, v14
	v_fma_f16 v18, v22, 0x39e0, -v18
	v_fma_f16 v21, v23, 0x39e0, -v21
	;; [unrolled: 1-line block ×4, first 2 shown]
	v_fmamk_f16 v22, v19, 0xb574, v24
	v_fmamk_f16 v23, v8, 0xb574, v25
	v_fma_f16 v17, v17, 0xbb00, -v24
	v_fma_f16 v19, v19, 0x3574, -v26
	v_fmamk_f16 v9, v9, 0xbcab, v20
	v_fma_f16 v7, v7, 0xbb00, -v25
	v_fma_f16 v8, v8, 0x3574, -v27
	v_fmamk_f16 v10, v10, 0xbcab, v15
	v_fmac_f16_e32 v22, 0xb70e, v4
	v_fmac_f16_e32 v23, 0xb70e, v6
	;; [unrolled: 1-line block ×4, first 2 shown]
	v_add_f16_e32 v4, v11, v9
	v_fmac_f16_e32 v7, 0xb70e, v6
	v_fmac_f16_e32 v8, 0xb70e, v6
	v_add_f16_e32 v6, v13, v9
	v_add_f16_e32 v9, v18, v9
	;; [unrolled: 1-line block ×7, first 2 shown]
	v_sub_f16_e32 v18, v9, v7
	v_add_f16_e32 v7, v7, v9
	v_sub_f16_e32 v6, v6, v8
	v_sub_f16_e32 v4, v4, v23
	ds_write_b16 v12, v20
	ds_write_b16 v12, v10 offset:52
	ds_write_b16 v12, v11 offset:104
	;; [unrolled: 1-line block ×6, first 2 shown]
	s_waitcnt lgkmcnt(0)
	s_barrier
	buffer_gl0_inv
	ds_read_u16 v4, v5
	ds_read_u16 v7, v5 offset:364
	ds_read_u16 v6, v5 offset:728
	;; [unrolled: 1-line block ×6, first 2 shown]
	v_sub_f16_e32 v18, v16, v22
	v_sub_f16_e32 v20, v14, v19
	v_add_f16_e32 v21, v17, v13
	v_sub_f16_e32 v13, v13, v17
	v_add_f16_e32 v14, v19, v14
	v_add_f16_e32 v16, v22, v16
	s_waitcnt lgkmcnt(0)
	s_barrier
	buffer_gl0_inv
	ds_write_b16 v12, v15
	ds_write_b16 v12, v18 offset:52
	ds_write_b16 v12, v20 offset:104
	ds_write_b16 v12, v21 offset:156
	ds_write_b16 v12, v13 offset:208
	ds_write_b16 v12, v14 offset:260
	ds_write_b16 v12, v16 offset:312
	s_waitcnt lgkmcnt(0)
	s_barrier
	buffer_gl0_inv
	s_and_saveexec_b32 s0, vcc_lo
	s_cbranch_execz .LBB0_27
; %bb.26:
	v_mul_u32_u24_e32 v3, 6, v3
	v_add_co_u32 v0, vcc_lo, s2, v0
	v_add_co_ci_u32_e32 v1, vcc_lo, s3, v1, vcc_lo
	v_lshlrev_b32_e32 v3, 2, v3
	s_clause 0x1
	global_load_dwordx4 v[12:15], v3, s[8:9] offset:720
	global_load_dwordx2 v[16:17], v3, s[8:9] offset:736
	ds_read_u16 v20, v5 offset:2184
	ds_read_u16 v21, v5 offset:1820
	;; [unrolled: 1-line block ×6, first 2 shown]
	ds_read_u16 v5, v5
	v_mov_b32_e32 v3, 0
	v_lshlrev_b64 v[2:3], 2, v[2:3]
	v_add_co_u32 v0, vcc_lo, v0, v2
	v_add_co_ci_u32_e32 v1, vcc_lo, v1, v3, vcc_lo
	v_add_co_u32 v2, vcc_lo, 0x800, v0
	v_add_co_ci_u32_e32 v3, vcc_lo, 0, v1, vcc_lo
	;; [unrolled: 2-line block ×3, first 2 shown]
	s_waitcnt vmcnt(1)
	v_lshrrev_b32_e32 v26, 16, v12
	v_lshrrev_b32_e32 v27, 16, v13
	;; [unrolled: 1-line block ×4, first 2 shown]
	s_waitcnt vmcnt(0)
	v_lshrrev_b32_e32 v31, 16, v16
	v_lshrrev_b32_e32 v32, 16, v17
	v_mul_f16_e32 v34, v9, v15
	v_mul_f16_e32 v35, v8, v14
	;; [unrolled: 1-line block ×6, first 2 shown]
	s_waitcnt lgkmcnt(4)
	v_fmac_f16_e32 v34, v22, v29
	s_waitcnt lgkmcnt(3)
	v_fmac_f16_e32 v35, v23, v28
	;; [unrolled: 2-line block ×3, first 2 shown]
	v_fmac_f16_e32 v37, v21, v31
	v_mul_f16_e32 v11, v11, v32
	v_mul_f16_e32 v7, v7, v26
	;; [unrolled: 1-line block ×4, first 2 shown]
	s_waitcnt lgkmcnt(1)
	v_fmac_f16_e32 v30, v25, v26
	v_fmac_f16_e32 v33, v20, v32
	v_mul_f16_e32 v8, v8, v28
	v_mul_f16_e32 v9, v9, v29
	v_sub_f16_e32 v27, v34, v35
	v_sub_f16_e32 v28, v36, v37
	v_fma_f16 v11, v20, v17, -v11
	v_fma_f16 v7, v25, v12, -v7
	;; [unrolled: 1-line block ×4, first 2 shown]
	v_sub_f16_e32 v26, v30, v33
	v_fma_f16 v8, v23, v14, -v8
	v_fma_f16 v9, v22, v15, -v9
	v_add_f16_e32 v12, v30, v33
	v_add_f16_e32 v13, v34, v35
	;; [unrolled: 1-line block ×6, first 2 shown]
	v_sub_f16_e32 v16, v27, v28
	v_add_f16_e32 v21, v9, v8
	v_sub_f16_e32 v23, v12, v13
	v_sub_f16_e32 v24, v13, v14
	v_add_f16_e32 v25, v12, v14
	v_sub_f16_e32 v7, v7, v11
	v_sub_f16_e32 v8, v9, v8
	;; [unrolled: 1-line block ×5, first 2 shown]
	v_add_f16_e32 v12, v26, v17
	v_add_f16_e32 v17, v20, v22
	v_sub_f16_e32 v15, v26, v27
	v_mul_f16_e32 v11, 0x3846, v16
	v_sub_f16_e32 v16, v21, v22
	v_mul_f16_e32 v24, 0x2b26, v24
	v_add_f16_e32 v13, v13, v25
	v_sub_f16_e32 v25, v7, v8
	v_sub_f16_e32 v27, v8, v6
	v_add_f16_e32 v8, v8, v6
	v_mul_f16_e32 v28, 0xbb00, v9
	v_add_f16_e32 v17, v21, v17
	v_sub_f16_e32 v14, v20, v21
	v_mul_f16_e32 v26, 0x3a52, v23
	v_sub_f16_e32 v6, v6, v7
	v_sub_f16_e32 v20, v22, v20
	v_fmamk_f16 v22, v15, 0xb574, v11
	v_mul_f16_e32 v16, 0x2b26, v16
	v_fmamk_f16 v21, v23, 0x3a52, v24
	v_add_f16_e32 v4, v4, v13
	v_mul_f16_e32 v23, 0x3846, v27
	v_add_f16_e32 v7, v7, v8
	v_fma_f16 v8, v15, 0x3574, -v28
	v_fma_f16 v9, v9, 0xbb00, -v11
	s_waitcnt lgkmcnt(0)
	v_add_f16_e32 v5, v5, v17
	v_mul_f16_e32 v29, 0x3a52, v14
	v_fma_f16 v15, v10, 0xb9e0, -v26
	v_mul_f16_e32 v26, 0xbb00, v6
	v_fmac_f16_e32 v22, 0xb70e, v12
	v_fmamk_f16 v11, v14, 0x3a52, v16
	v_fmamk_f16 v13, v13, 0xbcab, v4
	v_fmamk_f16 v14, v25, 0xb574, v23
	v_fmac_f16_e32 v8, 0xb70e, v12
	v_fmac_f16_e32 v9, 0xb70e, v12
	v_fmamk_f16 v12, v17, 0xbcab, v5
	v_fma_f16 v10, v10, 0x39e0, -v24
	v_fma_f16 v24, v20, 0xb9e0, -v29
	;; [unrolled: 1-line block ×5, first 2 shown]
	v_add_f16_e32 v17, v21, v13
	v_fmac_f16_e32 v14, 0xb70e, v7
	v_pack_b32_f16 v4, v4, v5
	v_add_f16_e32 v5, v11, v12
	v_add_f16_e32 v15, v15, v13
	v_fmac_f16_e32 v25, 0xb70e, v7
	v_fmac_f16_e32 v6, 0xb70e, v7
	v_add_f16_e32 v7, v10, v13
	v_add_f16_e32 v11, v24, v12
	;; [unrolled: 1-line block ×3, first 2 shown]
	v_sub_f16_e32 v10, v17, v14
	v_add_f16_e32 v14, v14, v17
	global_store_dword v[0:1], v4, off
	v_add_f16_e32 v4, v22, v5
	v_sub_f16_e32 v5, v5, v22
	v_sub_f16_e32 v13, v15, v25
	v_add_f16_e32 v16, v6, v7
	v_sub_f16_e32 v6, v7, v6
	v_add_f16_e32 v7, v25, v15
	;; [unrolled: 2-line block ×4, first 2 shown]
	v_pack_b32_f16 v5, v14, v5
	v_pack_b32_f16 v7, v7, v15
	;; [unrolled: 1-line block ×6, first 2 shown]
	global_store_dword v[0:1], v5, off offset:728
	global_store_dword v[0:1], v7, off offset:1456
	;; [unrolled: 1-line block ×6, first 2 shown]
.LBB0_27:
	s_endpgm
	.section	.rodata,"a",@progbits
	.p2align	6, 0x0
	.amdhsa_kernel fft_rtc_back_len1274_factors_2_13_7_7_wgs_182_tpt_182_halfLds_half_ip_CI_unitstride_sbrr_dirReg
		.amdhsa_group_segment_fixed_size 0
		.amdhsa_private_segment_fixed_size 0
		.amdhsa_kernarg_size 88
		.amdhsa_user_sgpr_count 6
		.amdhsa_user_sgpr_private_segment_buffer 1
		.amdhsa_user_sgpr_dispatch_ptr 0
		.amdhsa_user_sgpr_queue_ptr 0
		.amdhsa_user_sgpr_kernarg_segment_ptr 1
		.amdhsa_user_sgpr_dispatch_id 0
		.amdhsa_user_sgpr_flat_scratch_init 0
		.amdhsa_user_sgpr_private_segment_size 0
		.amdhsa_wavefront_size32 1
		.amdhsa_uses_dynamic_stack 0
		.amdhsa_system_sgpr_private_segment_wavefront_offset 0
		.amdhsa_system_sgpr_workgroup_id_x 1
		.amdhsa_system_sgpr_workgroup_id_y 0
		.amdhsa_system_sgpr_workgroup_id_z 0
		.amdhsa_system_sgpr_workgroup_info 0
		.amdhsa_system_vgpr_workitem_id 0
		.amdhsa_next_free_vgpr 67
		.amdhsa_next_free_sgpr 21
		.amdhsa_reserve_vcc 1
		.amdhsa_reserve_flat_scratch 0
		.amdhsa_float_round_mode_32 0
		.amdhsa_float_round_mode_16_64 0
		.amdhsa_float_denorm_mode_32 3
		.amdhsa_float_denorm_mode_16_64 3
		.amdhsa_dx10_clamp 1
		.amdhsa_ieee_mode 1
		.amdhsa_fp16_overflow 0
		.amdhsa_workgroup_processor_mode 1
		.amdhsa_memory_ordered 1
		.amdhsa_forward_progress 0
		.amdhsa_shared_vgpr_count 0
		.amdhsa_exception_fp_ieee_invalid_op 0
		.amdhsa_exception_fp_denorm_src 0
		.amdhsa_exception_fp_ieee_div_zero 0
		.amdhsa_exception_fp_ieee_overflow 0
		.amdhsa_exception_fp_ieee_underflow 0
		.amdhsa_exception_fp_ieee_inexact 0
		.amdhsa_exception_int_div_zero 0
	.end_amdhsa_kernel
	.text
.Lfunc_end0:
	.size	fft_rtc_back_len1274_factors_2_13_7_7_wgs_182_tpt_182_halfLds_half_ip_CI_unitstride_sbrr_dirReg, .Lfunc_end0-fft_rtc_back_len1274_factors_2_13_7_7_wgs_182_tpt_182_halfLds_half_ip_CI_unitstride_sbrr_dirReg
                                        ; -- End function
	.section	.AMDGPU.csdata,"",@progbits
; Kernel info:
; codeLenInByte = 7360
; NumSgprs: 23
; NumVgprs: 67
; ScratchSize: 0
; MemoryBound: 0
; FloatMode: 240
; IeeeMode: 1
; LDSByteSize: 0 bytes/workgroup (compile time only)
; SGPRBlocks: 2
; VGPRBlocks: 8
; NumSGPRsForWavesPerEU: 23
; NumVGPRsForWavesPerEU: 67
; Occupancy: 12
; WaveLimiterHint : 1
; COMPUTE_PGM_RSRC2:SCRATCH_EN: 0
; COMPUTE_PGM_RSRC2:USER_SGPR: 6
; COMPUTE_PGM_RSRC2:TRAP_HANDLER: 0
; COMPUTE_PGM_RSRC2:TGID_X_EN: 1
; COMPUTE_PGM_RSRC2:TGID_Y_EN: 0
; COMPUTE_PGM_RSRC2:TGID_Z_EN: 0
; COMPUTE_PGM_RSRC2:TIDIG_COMP_CNT: 0
	.text
	.p2alignl 6, 3214868480
	.fill 48, 4, 3214868480
	.type	__hip_cuid_bbd157b953858ea8,@object ; @__hip_cuid_bbd157b953858ea8
	.section	.bss,"aw",@nobits
	.globl	__hip_cuid_bbd157b953858ea8
__hip_cuid_bbd157b953858ea8:
	.byte	0                               ; 0x0
	.size	__hip_cuid_bbd157b953858ea8, 1

	.ident	"AMD clang version 19.0.0git (https://github.com/RadeonOpenCompute/llvm-project roc-6.4.0 25133 c7fe45cf4b819c5991fe208aaa96edf142730f1d)"
	.section	".note.GNU-stack","",@progbits
	.addrsig
	.addrsig_sym __hip_cuid_bbd157b953858ea8
	.amdgpu_metadata
---
amdhsa.kernels:
  - .args:
      - .actual_access:  read_only
        .address_space:  global
        .offset:         0
        .size:           8
        .value_kind:     global_buffer
      - .offset:         8
        .size:           8
        .value_kind:     by_value
      - .actual_access:  read_only
        .address_space:  global
        .offset:         16
        .size:           8
        .value_kind:     global_buffer
      - .actual_access:  read_only
        .address_space:  global
        .offset:         24
        .size:           8
        .value_kind:     global_buffer
      - .offset:         32
        .size:           8
        .value_kind:     by_value
      - .actual_access:  read_only
        .address_space:  global
        .offset:         40
        .size:           8
        .value_kind:     global_buffer
      - .actual_access:  read_only
        .address_space:  global
        .offset:         48
        .size:           8
        .value_kind:     global_buffer
      - .offset:         56
        .size:           4
        .value_kind:     by_value
      - .actual_access:  read_only
        .address_space:  global
        .offset:         64
        .size:           8
        .value_kind:     global_buffer
      - .actual_access:  read_only
        .address_space:  global
        .offset:         72
        .size:           8
        .value_kind:     global_buffer
      - .address_space:  global
        .offset:         80
        .size:           8
        .value_kind:     global_buffer
    .group_segment_fixed_size: 0
    .kernarg_segment_align: 8
    .kernarg_segment_size: 88
    .language:       OpenCL C
    .language_version:
      - 2
      - 0
    .max_flat_workgroup_size: 182
    .name:           fft_rtc_back_len1274_factors_2_13_7_7_wgs_182_tpt_182_halfLds_half_ip_CI_unitstride_sbrr_dirReg
    .private_segment_fixed_size: 0
    .sgpr_count:     23
    .sgpr_spill_count: 0
    .symbol:         fft_rtc_back_len1274_factors_2_13_7_7_wgs_182_tpt_182_halfLds_half_ip_CI_unitstride_sbrr_dirReg.kd
    .uniform_work_group_size: 1
    .uses_dynamic_stack: false
    .vgpr_count:     67
    .vgpr_spill_count: 0
    .wavefront_size: 32
    .workgroup_processor_mode: 1
amdhsa.target:   amdgcn-amd-amdhsa--gfx1030
amdhsa.version:
  - 1
  - 2
...

	.end_amdgpu_metadata
